;; amdgpu-corpus repo=zjin-lcf/HeCBench kind=compiled arch=gfx1250 opt=O3
	.amdgcn_target "amdgcn-amd-amdhsa--gfx1250"
	.amdhsa_code_object_version 6
	.text
	.protected	_Z13invkin_kernelPKfS0_Pfi ; -- Begin function _Z13invkin_kernelPKfS0_Pfi
	.globl	_Z13invkin_kernelPKfS0_Pfi
	.p2align	8
	.type	_Z13invkin_kernelPKfS0_Pfi,@function
_Z13invkin_kernelPKfS0_Pfi:             ; @_Z13invkin_kernelPKfS0_Pfi
; %bb.0:
	s_clause 0x1
	s_load_b32 s2, s[0:1], 0x20
	s_load_b32 s3, s[0:1], 0x2c
	s_bfe_u32 s5, ttmp6, 0x4000c
	s_bfe_u32 s6, ttmp6, 0x40010
	s_add_co_i32 s5, s5, 1
	s_add_co_i32 s6, s6, 1
	s_and_b32 s4, ttmp6, 15
	s_bfe_u32 s7, ttmp6, 0x40004
	s_mul_i32 s5, ttmp9, s5
	s_mul_i32 s6, ttmp7, s6
	s_getreg_b32 s8, hwreg(HW_REG_IB_STS2, 6, 4)
	s_add_co_i32 s4, s4, s5
	s_add_co_i32 s7, s7, s6
	s_cmp_eq_u32 s8, 0
	v_bfe_u32 v1, v0, 10, 10
	s_cselect_b32 s5, ttmp7, s7
	s_cselect_b32 s4, ttmp9, s4
	v_and_b32_e32 v0, 0x3ff, v0
	s_wait_kmcnt 0x0
	s_mul_i32 s2, s2, s5
	s_delay_alu instid0(SALU_CYCLE_1) | instskip(SKIP_4) | instid1(VALU_DEP_1)
	s_add_co_i32 s2, s2, s4
	s_lshr_b32 s4, s3, 16
	s_and_b32 s3, s3, 0xffff
	v_mad_u32 v1, s2, s4, v1
	s_load_b32 s2, s[0:1], 0x18
	v_mad_u32 v2, v1, s3, v0
	s_wait_kmcnt 0x0
	s_delay_alu instid0(VALU_DEP_1)
	v_cmp_gt_i32_e32 vcc_lo, s2, v2
	s_and_saveexec_b32 s2, vcc_lo
	s_cbranch_execz .LBB0_4
; %bb.1:
	s_clause 0x1
	s_load_b128 s[8:11], s[0:1], 0x0
	s_load_b64 s[6:7], s[0:1], 0x10
	s_wait_kmcnt 0x0
	s_clause 0x1
	global_load_b32 v0, v2, s[8:9] scale_offset
	global_load_b32 v1, v2, s[10:11] scale_offset
	s_wait_loadcnt 0x1
	v_dual_add_f32 v3, -2.0, v0 :: v_dual_add_f32 v6, -1.0, v0
	s_wait_loadcnt 0x0
	v_pk_mul_f32 v[4:5], v[0:1], v[0:1]
	s_delay_alu instid0(VALU_DEP_1) | instskip(NEXT) | instid1(VALU_DEP_1)
	v_dual_fma_f32 v7, v3, v3, v5 :: v_dual_fma_f32 v8, v6, v6, v5
	v_dual_add_f32 v4, v4, v5 :: v_dual_mul_f32 v5, 0x4f800000, v7
	v_cmp_gt_f32_e32 vcc_lo, 0xf800000, v7
	s_delay_alu instid0(VALU_DEP_3) | instskip(NEXT) | instid1(VALU_DEP_3)
	v_mul_f32_e32 v9, 0x4f800000, v8
	v_mul_f32_e32 v10, 0x4f800000, v4
	v_cmp_gt_f32_e64 s0, 0xf800000, v8
	v_cmp_gt_f32_e64 s1, 0xf800000, v4
	v_cndmask_b32_e32 v5, v7, v5, vcc_lo
	s_delay_alu instid0(VALU_DEP_3) | instskip(NEXT) | instid1(VALU_DEP_2)
	v_cndmask_b32_e64 v7, v8, v9, s0
	v_sqrt_f32_e32 v8, v5
	v_nop
	s_delay_alu instid0(TRANS32_DEP_1) | instskip(NEXT) | instid1(VALU_DEP_3)
	v_add_nc_u32_e32 v11, -1, v8
	v_sqrt_f32_e32 v9, v7
	v_dual_cndmask_b32 v4, v4, v10, s1 :: v_dual_add_nc_u32 v12, 1, v8
	s_delay_alu instid0(TRANS32_DEP_1) | instskip(NEXT) | instid1(VALU_DEP_2)
	v_dual_fma_f32 v17, -v11, v8, v5 :: v_dual_add_nc_u32 v13, -1, v9
	v_sqrt_f32_e32 v10, v4
	s_delay_alu instid0(VALU_DEP_2) | instskip(NEXT) | instid1(VALU_DEP_2)
	v_dual_add_nc_u32 v14, 1, v9 :: v_dual_fma_f32 v18, -v12, v8, v5
	v_cmp_ge_f32_e64 s2, 0, v17
	s_delay_alu instid0(TRANS32_DEP_1) | instskip(NEXT) | instid1(VALU_DEP_3)
	v_dual_fma_f32 v19, -v13, v9, v7 :: v_dual_add_nc_u32 v16, 1, v10
	v_dual_add_nc_u32 v15, -1, v10 :: v_dual_fma_f32 v20, -v14, v9, v7
	s_delay_alu instid0(VALU_DEP_3) | instskip(NEXT) | instid1(VALU_DEP_3)
	v_cndmask_b32_e64 v8, v8, v11, s2
	v_cmp_ge_f32_e64 s2, 0, v19
	s_delay_alu instid0(VALU_DEP_3) | instskip(NEXT) | instid1(VALU_DEP_2)
	v_dual_fma_f32 v22, -v16, v10, v4 :: v_dual_fma_f32 v21, -v15, v10, v4
	v_cndmask_b32_e64 v9, v9, v13, s2
	s_delay_alu instid0(VALU_DEP_2) | instskip(NEXT) | instid1(VALU_DEP_1)
	v_cmp_ge_f32_e64 s2, 0, v21
	v_cndmask_b32_e64 v10, v10, v15, s2
	v_cmp_lt_f32_e64 s2, 0, v18
	s_delay_alu instid0(VALU_DEP_1) | instskip(SKIP_1) | instid1(VALU_DEP_1)
	v_cndmask_b32_e64 v8, v8, v12, s2
	v_cmp_lt_f32_e64 s2, 0, v20
	v_cndmask_b32_e64 v9, v9, v14, s2
	v_cmp_lt_f32_e64 s2, 0, v22
	s_delay_alu instid0(VALU_DEP_2) | instskip(NEXT) | instid1(VALU_DEP_1)
	v_dual_mul_f32 v11, 0x37800000, v8 :: v_dual_mul_f32 v12, 0x37800000, v9
	v_dual_cndmask_b32 v10, v10, v16, s2 :: v_dual_cndmask_b32 v8, v8, v11, vcc_lo
	v_cmp_class_f32_e64 vcc_lo, v5, 0x260
	s_delay_alu instid0(VALU_DEP_1) | instskip(SKIP_1) | instid1(VALU_DEP_2)
	v_dual_cndmask_b32 v9, v9, v12, s0 :: v_dual_cndmask_b32 v5, v8, v5, vcc_lo
	v_cmp_class_f32_e64 vcc_lo, v7, 0x260
	v_cndmask_b32_e32 v7, v9, v7, vcc_lo
	v_cmp_class_f32_e64 vcc_lo, v4, 0x260
	v_mul_f32_e32 v13, 0x37800000, v10
	v_div_scale_f32 v8, null, v5, v5, v3
	s_delay_alu instid0(VALU_DEP_4) | instskip(NEXT) | instid1(VALU_DEP_3)
	v_div_scale_f32 v12, null, v7, v7, v6
	v_cndmask_b32_e64 v10, v10, v13, s1
	v_div_scale_f32 v14, null, v7, v7, v1
	s_delay_alu instid0(VALU_DEP_4) | instskip(NEXT) | instid1(VALU_DEP_3)
	v_rcp_f32_e32 v19, v8
	v_rcp_f32_e32 v21, v12
	s_delay_alu instid0(VALU_DEP_2) | instskip(SKIP_3) | instid1(VALU_DEP_3)
	v_cndmask_b32_e32 v4, v10, v4, vcc_lo
	v_div_scale_f32 v10, null, v5, v5, v1
	v_rcp_f32_e32 v22, v14
	v_div_scale_f32 v9, vcc_lo, v3, v5, v3
	v_div_scale_f32 v16, null, v4, v4, v0
	v_div_scale_f32 v18, null, v4, v4, v1
	v_rcp_f32_e32 v20, v10
	s_delay_alu instid0(VALU_DEP_2) | instskip(SKIP_1) | instid1(VALU_DEP_2)
	v_rcp_f32_e32 v23, v16
	v_fma_f32 v26, -v8, v19, 1.0
	v_rcp_f32_e32 v24, v18
	v_fma_f32 v28, -v12, v21, 1.0
	v_fma_f32 v29, -v14, v22, 1.0
	v_div_scale_f32 v11, s0, v1, v5, v1
	v_fma_f32 v27, -v10, v20, 1.0
	v_fma_f32 v30, -v16, v23, 1.0
	s_delay_alu instid0(TRANS32_DEP_1)
	v_fma_f32 v31, -v18, v24, 1.0
	v_fmac_f32_e32 v19, v26, v19
	v_div_scale_f32 v13, s1, v6, v7, v6
	v_fmac_f32_e32 v20, v27, v20
	v_div_scale_f32 v15, s2, v1, v7, v1
	v_div_scale_f32 v17, s3, v0, v4, v0
	;; [unrolled: 1-line block ×3, first 2 shown]
	v_dual_fmac_f32 v21, v28, v21 :: v_dual_fmac_f32 v22, v29, v22
	v_dual_fmac_f32 v23, v30, v23 :: v_dual_fmac_f32 v24, v31, v24
	v_dual_mul_f32 v26, v9, v19 :: v_dual_mul_f32 v27, v11, v20
	s_delay_alu instid0(VALU_DEP_3) | instskip(NEXT) | instid1(VALU_DEP_2)
	v_dual_mul_f32 v28, v13, v21 :: v_dual_mul_f32 v29, v15, v22
	v_dual_mul_f32 v30, v17, v23 :: v_dual_fma_f32 v32, -v8, v26, v9
	s_delay_alu instid0(VALU_DEP_3) | instskip(NEXT) | instid1(VALU_DEP_3)
	v_dual_mul_f32 v31, v25, v24 :: v_dual_fma_f32 v33, -v10, v27, v11
	v_dual_fma_f32 v34, -v12, v28, v13 :: v_dual_fma_f32 v35, -v14, v29, v15
	s_delay_alu instid0(VALU_DEP_3) | instskip(NEXT) | instid1(VALU_DEP_3)
	v_fmac_f32_e32 v26, v32, v19
	v_fma_f32 v37, -v18, v31, v25
	s_delay_alu instid0(VALU_DEP_4) | instskip(NEXT) | instid1(VALU_DEP_3)
	v_dual_fma_f32 v36, -v16, v30, v17 :: v_dual_fmac_f32 v27, v33, v20
	v_dual_fmac_f32 v28, v34, v21 :: v_dual_fma_f32 v8, -v8, v26, v9
	s_delay_alu instid0(VALU_DEP_3) | instskip(NEXT) | instid1(VALU_DEP_3)
	v_dual_fmac_f32 v31, v37, v24 :: v_dual_fmac_f32 v29, v35, v22
	v_fmac_f32_e32 v30, v36, v23
	s_delay_alu instid0(VALU_DEP_3) | instskip(NEXT) | instid1(VALU_DEP_4)
	v_dual_fma_f32 v9, -v10, v27, v11 :: v_dual_fma_f32 v10, -v12, v28, v13
	v_div_fmas_f32 v8, v8, v19, v26
	s_mov_b32 vcc_lo, s0
	s_delay_alu instid0(VALU_DEP_3) | instskip(NEXT) | instid1(VALU_DEP_3)
	v_dual_fma_f32 v11, -v14, v29, v15 :: v_dual_fma_f32 v12, -v16, v30, v17
	v_div_fmas_f32 v9, v9, v20, v27
	s_mov_b32 vcc_lo, s1
	v_fma_f32 v13, -v18, v31, v25
	v_div_fmas_f32 v10, v10, v21, v28
	s_mov_b32 vcc_lo, s2
	v_div_fixup_f32 v8, v8, v5, v3
	v_div_fmas_f32 v3, v11, v22, v29
	v_div_fixup_f32 v5, v9, v5, v1
	s_mov_b32 vcc_lo, s3
	v_div_fixup_f32 v6, v10, v7, v6
	v_div_fmas_f32 v9, v12, v23, v30
	s_mov_b32 vcc_lo, s4
	v_div_fixup_f32 v7, v3, v7, v1
	v_div_fmas_f32 v10, v13, v24, v31
	v_fma_f32 v3, 0, v5, v8
	v_div_fixup_f32 v0, v9, v4, v0
	s_mov_b32 s2, 0x3d1c21a7
	v_mul_f32_e32 v8, 0, v8
	v_div_fixup_f32 v1, v10, v4, v1
	v_fma_f32 v4, 0, v7, v6
	v_cmp_nlt_f32_e32 vcc_lo, 1.0, v3
	s_delay_alu instid0(VALU_DEP_3) | instskip(SKIP_1) | instid1(VALU_DEP_4)
	v_dual_mul_f32 v6, 0, v6 :: v_dual_fma_f32 v10, 0, v1, v0
	v_dual_mul_f32 v0, 0, v0 :: v_dual_cndmask_b32 v9, 1.0, v3
	v_cmp_nlt_f32_e32 vcc_lo, 1.0, v4
	v_cndmask_b32_e32 v11, 1.0, v4, vcc_lo
	v_cmp_ngt_f32_e32 vcc_lo, -1.0, v3
	s_delay_alu instid0(VALU_DEP_4)
	v_cndmask_b32_e32 v3, -1.0, v9, vcc_lo
	v_cmp_nlt_f32_e32 vcc_lo, 1.0, v10
	v_cndmask_b32_e32 v9, 1.0, v10, vcc_lo
	v_cmp_ngt_f32_e32 vcc_lo, -1.0, v4
	v_cndmask_b32_e32 v4, -1.0, v11, vcc_lo
	v_cmp_ngt_f32_e32 vcc_lo, -1.0, v10
	v_fma_f32 v11, |v3|, -0.5, 0.5
	v_mul_f32_e32 v12, v3, v3
	s_delay_alu instid0(VALU_DEP_4)
	v_fma_f32 v10, |v4|, -0.5, 0.5
	v_cndmask_b32_e32 v9, -1.0, v9, vcc_lo
	v_cmp_gt_f32_e64 vcc_lo, |v3|, 0.5
	v_mul_f32_e32 v13, v4, v4
	v_cmp_gt_f32_e64 s0, |v4|, 0.5
	v_cmp_gt_f32_e64 s3, 0, v4
	v_dual_mul_f32 v14, v9, v9 :: v_dual_cndmask_b32 v11, v12, v11
	v_fma_f32 v12, |v9|, -0.5, 0.5
	s_delay_alu instid0(VALU_DEP_4) | instskip(SKIP_1) | instid1(VALU_DEP_4)
	v_cndmask_b32_e64 v10, v13, v10, s0
	v_cmp_gt_f32_e64 s1, |v9|, 0.5
	v_fmaak_f32 v13, s2, v11, 0x3c5fc5da
	v_sqrt_f32_e32 v16, v11
	s_delay_alu instid0(VALU_DEP_2) | instskip(SKIP_1) | instid1(VALU_DEP_1)
	v_cndmask_b32_e64 v12, v14, v12, s1
	v_fmaak_f32 v14, s2, v10, 0x3c5fc5da
	v_dual_fmaak_f32 v13, v11, v13, 0x3d034c3c :: v_dual_fmaak_f32 v14, v10, v14, 0x3d034c3c
	s_delay_alu instid0(VALU_DEP_1) | instskip(NEXT) | instid1(VALU_DEP_1)
	v_dual_fmaak_f32 v13, v11, v13, 0x3d3641b1 :: v_dual_fmaak_f32 v14, v10, v14, 0x3d3641b1
	v_dual_fmaak_f32 v13, v11, v13, 0x3d999bc8 :: v_dual_fmaak_f32 v14, v10, v14, 0x3d999bc8
	s_delay_alu instid0(VALU_DEP_1) | instskip(NEXT) | instid1(VALU_DEP_1)
	v_dual_fmaak_f32 v13, v11, v13, 0x3e2aaaac :: v_dual_fmaak_f32 v14, v10, v14, 0x3e2aaaac
	v_mul_f32_e32 v11, v11, v13
	v_fmaak_f32 v15, s2, v12, 0x3c5fc5da
	v_sqrt_f32_e32 v13, v10
	v_cmp_gt_f32_e64 s2, 0, v3
	v_mul_f32_e32 v10, v10, v14
	v_sqrt_f32_e32 v14, v12
	v_fmaak_f32 v15, v12, v15, 0x3d034c3c
	v_dual_fmac_f32 v16, v16, v11 :: v_dual_fmac_f32 v3, v3, v11
	s_delay_alu instid0(TRANS32_DEP_2) | instid1(VALU_DEP_3)
	v_fmac_f32_e32 v13, v13, v10
	s_delay_alu instid0(VALU_DEP_3) | instskip(NEXT) | instid1(VALU_DEP_2)
	v_fmaak_f32 v15, v12, v15, 0x3d3641b1
	v_add_f32_e32 v13, v13, v13
	s_delay_alu instid0(VALU_DEP_2) | instskip(NEXT) | instid1(VALU_DEP_1)
	v_fmaak_f32 v15, v12, v15, 0x3d999bc8
	v_fmaak_f32 v15, v12, v15, 0x3e2aaaac
	s_delay_alu instid0(VALU_DEP_1) | instskip(SKIP_1) | instid1(VALU_DEP_2)
	v_mul_f32_e32 v12, v12, v15
	v_add_f32_e32 v15, v16, v16
	v_fmac_f32_e32 v14, v14, v12
	s_delay_alu instid0(VALU_DEP_1) | instskip(SKIP_1) | instid1(VALU_DEP_2)
	v_dual_sub_f32 v16, 0x40490fdb, v15 :: v_dual_add_f32 v11, v14, v14
	v_sub_f32_e32 v14, 0x40490fdb, v13
	v_dual_fmac_f32 v4, v4, v10 :: v_dual_cndmask_b32 v10, v15, v16, s2
	v_cmp_gt_f32_e64 s2, 0, v9
	s_delay_alu instid0(VALU_DEP_4) | instskip(SKIP_3) | instid1(VALU_DEP_4)
	v_sub_f32_e32 v15, 0x40490fdb, v11
	v_dual_fmac_f32 v9, v9, v12 :: v_dual_sub_f32 v12, 0x3fc90fdb, v3
	v_cndmask_b32_e64 v13, v13, v14, s3
	v_sub_f32_e32 v4, 0x3fc90fdb, v4
	v_cndmask_b32_e64 v11, v11, v15, s2
	s_delay_alu instid0(VALU_DEP_4) | instskip(NEXT) | instid1(VALU_DEP_3)
	v_dual_sub_f32 v9, 0x3fc90fdb, v9 :: v_dual_cndmask_b32 v10, v12, v10
	v_dual_mov_b32 v3, 0 :: v_dual_cndmask_b32 v4, v4, v13, s0
	v_cmp_lt_f32_e32 vcc_lo, v5, v8
	s_delay_alu instid0(VALU_DEP_3) | instskip(NEXT) | instid1(VALU_DEP_4)
	v_cndmask_b32_e64 v9, v9, v11, s1
	v_mul_f32_e32 v10, 0x42652ee0, v10
	s_mov_b32 s0, 25
	s_delay_alu instid0(VALU_DEP_2) | instskip(NEXT) | instid1(VALU_DEP_2)
	v_dual_mul_f32 v4, 0x42652ee0, v4 :: v_dual_mul_f32 v9, 0x42652ee0, v9
	v_cndmask_b32_e64 v5, v10, -v10, vcc_lo
	v_cmp_lt_f32_e32 vcc_lo, v7, v6
	s_delay_alu instid0(VALU_DEP_3)
	v_cndmask_b32_e64 v6, v4, -v4, vcc_lo
	v_cmp_lt_f32_e32 vcc_lo, v1, v0
	v_cndmask_b32_e64 v0, v9, -v9, vcc_lo
	v_cmp_nlt_f32_e32 vcc_lo, 0x41f00000, v5
	v_cndmask_b32_e32 v1, 0x41f00000, v5, vcc_lo
	v_cmp_nlt_f32_e32 vcc_lo, 0x41f00000, v6
	v_cndmask_b32_e32 v7, 0x41f00000, v6, vcc_lo
	;; [unrolled: 2-line block ×3, first 2 shown]
	v_cmp_ngt_f32_e32 vcc_lo, 0xc1f00000, v5
	v_cndmask_b32_e32 v4, 0xc1f00000, v1, vcc_lo
	v_cmp_ngt_f32_e32 vcc_lo, 0xc1f00000, v6
	v_mov_b32_e32 v1, 0
	v_cndmask_b32_e32 v5, 0xc1f00000, v7, vcc_lo
	v_cmp_ngt_f32_e32 vcc_lo, 0xc1f00000, v0
	v_cndmask_b32_e32 v0, 0xc1f00000, v8, vcc_lo
.LBB0_2:                                ; =>This Inner Loop Header: Depth=1
	s_delay_alu instid0(VALU_DEP_1) | instskip(SKIP_1) | instid1(VALU_DEP_2)
	v_dual_mov_b32 v7, v3 :: v_dual_mov_b32 v8, v1
	s_add_co_i32 s0, s0, -1
	v_mov_b32_e32 v3, v0
	s_cmp_lg_u32 s0, 0
	s_delay_alu instid0(VALU_DEP_2) | instskip(NEXT) | instid1(VALU_DEP_1)
	v_add_f32_e32 v6, v7, v5
	v_add_f32_e32 v1, v0, v6
	s_cbranch_scc1 .LBB0_2
; %bb.3:
	v_add_f32_e32 v3, v7, v8
	s_delay_alu instid0(VALU_DEP_1) | instskip(SKIP_1) | instid1(VALU_DEP_1)
	v_add_f32_e32 v3, v3, v4
	v_lshl_add_u32 v4, v2, 1, v2
	v_dual_add_f32 v2, v6, v3 :: v_dual_ashrrev_i32 v5, 31, v4
	s_delay_alu instid0(VALU_DEP_1) | instskip(NEXT) | instid1(VALU_DEP_2)
	v_lshl_add_u64 v[4:5], v[4:5], 2, s[6:7]
	v_add_f32_e32 v2, v1, v2
	global_store_b96 v[4:5], v[0:2], off
.LBB0_4:
	s_endpgm
	.section	.rodata,"a",@progbits
	.p2align	6, 0x0
	.amdhsa_kernel _Z13invkin_kernelPKfS0_Pfi
		.amdhsa_group_segment_fixed_size 0
		.amdhsa_private_segment_fixed_size 0
		.amdhsa_kernarg_size 288
		.amdhsa_user_sgpr_count 2
		.amdhsa_user_sgpr_dispatch_ptr 0
		.amdhsa_user_sgpr_queue_ptr 0
		.amdhsa_user_sgpr_kernarg_segment_ptr 1
		.amdhsa_user_sgpr_dispatch_id 0
		.amdhsa_user_sgpr_kernarg_preload_length 0
		.amdhsa_user_sgpr_kernarg_preload_offset 0
		.amdhsa_user_sgpr_private_segment_size 0
		.amdhsa_wavefront_size32 1
		.amdhsa_uses_dynamic_stack 0
		.amdhsa_enable_private_segment 0
		.amdhsa_system_sgpr_workgroup_id_x 1
		.amdhsa_system_sgpr_workgroup_id_y 1
		.amdhsa_system_sgpr_workgroup_id_z 0
		.amdhsa_system_sgpr_workgroup_info 0
		.amdhsa_system_vgpr_workitem_id 1
		.amdhsa_next_free_vgpr 38
		.amdhsa_next_free_sgpr 12
		.amdhsa_named_barrier_count 0
		.amdhsa_reserve_vcc 1
		.amdhsa_float_round_mode_32 0
		.amdhsa_float_round_mode_16_64 0
		.amdhsa_float_denorm_mode_32 3
		.amdhsa_float_denorm_mode_16_64 3
		.amdhsa_fp16_overflow 0
		.amdhsa_memory_ordered 1
		.amdhsa_forward_progress 1
		.amdhsa_inst_pref_size 16
		.amdhsa_round_robin_scheduling 0
		.amdhsa_exception_fp_ieee_invalid_op 0
		.amdhsa_exception_fp_denorm_src 0
		.amdhsa_exception_fp_ieee_div_zero 0
		.amdhsa_exception_fp_ieee_overflow 0
		.amdhsa_exception_fp_ieee_underflow 0
		.amdhsa_exception_fp_ieee_inexact 0
		.amdhsa_exception_int_div_zero 0
	.end_amdhsa_kernel
	.text
.Lfunc_end0:
	.size	_Z13invkin_kernelPKfS0_Pfi, .Lfunc_end0-_Z13invkin_kernelPKfS0_Pfi
                                        ; -- End function
	.set _Z13invkin_kernelPKfS0_Pfi.num_vgpr, 38
	.set _Z13invkin_kernelPKfS0_Pfi.num_agpr, 0
	.set _Z13invkin_kernelPKfS0_Pfi.numbered_sgpr, 12
	.set _Z13invkin_kernelPKfS0_Pfi.num_named_barrier, 0
	.set _Z13invkin_kernelPKfS0_Pfi.private_seg_size, 0
	.set _Z13invkin_kernelPKfS0_Pfi.uses_vcc, 1
	.set _Z13invkin_kernelPKfS0_Pfi.uses_flat_scratch, 0
	.set _Z13invkin_kernelPKfS0_Pfi.has_dyn_sized_stack, 0
	.set _Z13invkin_kernelPKfS0_Pfi.has_recursion, 0
	.set _Z13invkin_kernelPKfS0_Pfi.has_indirect_call, 0
	.section	.AMDGPU.csdata,"",@progbits
; Kernel info:
; codeLenInByte = 1940
; TotalNumSgprs: 14
; NumVgprs: 38
; ScratchSize: 0
; MemoryBound: 0
; FloatMode: 240
; IeeeMode: 1
; LDSByteSize: 0 bytes/workgroup (compile time only)
; SGPRBlocks: 0
; VGPRBlocks: 2
; NumSGPRsForWavesPerEU: 14
; NumVGPRsForWavesPerEU: 38
; NamedBarCnt: 0
; Occupancy: 16
; WaveLimiterHint : 0
; COMPUTE_PGM_RSRC2:SCRATCH_EN: 0
; COMPUTE_PGM_RSRC2:USER_SGPR: 2
; COMPUTE_PGM_RSRC2:TRAP_HANDLER: 0
; COMPUTE_PGM_RSRC2:TGID_X_EN: 1
; COMPUTE_PGM_RSRC2:TGID_Y_EN: 1
; COMPUTE_PGM_RSRC2:TGID_Z_EN: 0
; COMPUTE_PGM_RSRC2:TIDIG_COMP_CNT: 1
	.text
	.p2alignl 7, 3214868480
	.fill 96, 4, 3214868480
	.section	.AMDGPU.gpr_maximums,"",@progbits
	.set amdgpu.max_num_vgpr, 0
	.set amdgpu.max_num_agpr, 0
	.set amdgpu.max_num_sgpr, 0
	.text
	.type	__hip_cuid_5b7b48c94d8d0b15,@object ; @__hip_cuid_5b7b48c94d8d0b15
	.section	.bss,"aw",@nobits
	.globl	__hip_cuid_5b7b48c94d8d0b15
__hip_cuid_5b7b48c94d8d0b15:
	.byte	0                               ; 0x0
	.size	__hip_cuid_5b7b48c94d8d0b15, 1

	.ident	"AMD clang version 22.0.0git (https://github.com/RadeonOpenCompute/llvm-project roc-7.2.4 26084 f58b06dce1f9c15707c5f808fd002e18c2accf7e)"
	.section	".note.GNU-stack","",@progbits
	.addrsig
	.addrsig_sym __hip_cuid_5b7b48c94d8d0b15
	.amdgpu_metadata
---
amdhsa.kernels:
  - .args:
      - .actual_access:  read_only
        .address_space:  global
        .offset:         0
        .size:           8
        .value_kind:     global_buffer
      - .actual_access:  read_only
        .address_space:  global
        .offset:         8
        .size:           8
        .value_kind:     global_buffer
      - .actual_access:  write_only
        .address_space:  global
        .offset:         16
        .size:           8
        .value_kind:     global_buffer
      - .offset:         24
        .size:           4
        .value_kind:     by_value
      - .offset:         32
        .size:           4
        .value_kind:     hidden_block_count_x
      - .offset:         36
        .size:           4
        .value_kind:     hidden_block_count_y
      - .offset:         40
        .size:           4
        .value_kind:     hidden_block_count_z
      - .offset:         44
        .size:           2
        .value_kind:     hidden_group_size_x
      - .offset:         46
        .size:           2
        .value_kind:     hidden_group_size_y
      - .offset:         48
        .size:           2
        .value_kind:     hidden_group_size_z
      - .offset:         50
        .size:           2
        .value_kind:     hidden_remainder_x
      - .offset:         52
        .size:           2
        .value_kind:     hidden_remainder_y
      - .offset:         54
        .size:           2
        .value_kind:     hidden_remainder_z
      - .offset:         72
        .size:           8
        .value_kind:     hidden_global_offset_x
      - .offset:         80
        .size:           8
        .value_kind:     hidden_global_offset_y
      - .offset:         88
        .size:           8
        .value_kind:     hidden_global_offset_z
      - .offset:         96
        .size:           2
        .value_kind:     hidden_grid_dims
    .group_segment_fixed_size: 0
    .kernarg_segment_align: 8
    .kernarg_segment_size: 288
    .language:       OpenCL C
    .language_version:
      - 2
      - 0
    .max_flat_workgroup_size: 1024
    .name:           _Z13invkin_kernelPKfS0_Pfi
    .private_segment_fixed_size: 0
    .sgpr_count:     14
    .sgpr_spill_count: 0
    .symbol:         _Z13invkin_kernelPKfS0_Pfi.kd
    .uniform_work_group_size: 1
    .uses_dynamic_stack: false
    .vgpr_count:     38
    .vgpr_spill_count: 0
    .wavefront_size: 32
amdhsa.target:   amdgcn-amd-amdhsa--gfx1250
amdhsa.version:
  - 1
  - 2
...

	.end_amdgpu_metadata
